;; amdgpu-corpus repo=ROCm/rocFFT kind=compiled arch=gfx1201 opt=O3
	.text
	.amdgcn_target "amdgcn-amd-amdhsa--gfx1201"
	.amdhsa_code_object_version 6
	.protected	fft_rtc_fwd_len1944_factors_3_3_3_3_8_3_wgs_243_tpt_243_halfLds_sp_op_CI_CI_sbrr_dirReg ; -- Begin function fft_rtc_fwd_len1944_factors_3_3_3_3_8_3_wgs_243_tpt_243_halfLds_sp_op_CI_CI_sbrr_dirReg
	.globl	fft_rtc_fwd_len1944_factors_3_3_3_3_8_3_wgs_243_tpt_243_halfLds_sp_op_CI_CI_sbrr_dirReg
	.p2align	8
	.type	fft_rtc_fwd_len1944_factors_3_3_3_3_8_3_wgs_243_tpt_243_halfLds_sp_op_CI_CI_sbrr_dirReg,@function
fft_rtc_fwd_len1944_factors_3_3_3_3_8_3_wgs_243_tpt_243_halfLds_sp_op_CI_CI_sbrr_dirReg: ; @fft_rtc_fwd_len1944_factors_3_3_3_3_8_3_wgs_243_tpt_243_halfLds_sp_op_CI_CI_sbrr_dirReg
; %bb.0:
	s_clause 0x2
	s_load_b128 s[12:15], s[0:1], 0x18
	s_load_b128 s[4:7], s[0:1], 0x0
	;; [unrolled: 1-line block ×3, first 2 shown]
	v_mul_u32_u24_e32 v1, 0x10e, v0
	v_mov_b32_e32 v8, 0
	v_mov_b32_e32 v2, 0
	;; [unrolled: 1-line block ×3, first 2 shown]
	s_wait_kmcnt 0x0
	s_load_b64 s[18:19], s[12:13], 0x0
	s_load_b64 s[16:17], s[14:15], 0x0
	v_lshrrev_b32_e32 v1, 16, v1
	v_cmp_lt_u64_e64 s2, s[6:7], 2
	s_delay_alu instid0(VALU_DEP_2) | instskip(NEXT) | instid1(VALU_DEP_2)
	v_dual_mov_b32 v11, v8 :: v_dual_add_nc_u32 v10, ttmp9, v1
	s_and_b32 vcc_lo, exec_lo, s2
	s_cbranch_vccnz .LBB0_8
; %bb.1:
	s_load_b64 s[2:3], s[0:1], 0x10
	v_mov_b32_e32 v2, 0
	v_mov_b32_e32 v3, 0
	s_add_nc_u64 s[20:21], s[14:15], 8
	s_add_nc_u64 s[22:23], s[12:13], 8
	s_mov_b64 s[24:25], 1
	s_delay_alu instid0(VALU_DEP_1)
	v_dual_mov_b32 v5, v3 :: v_dual_mov_b32 v4, v2
	s_wait_kmcnt 0x0
	s_add_nc_u64 s[26:27], s[2:3], 8
	s_mov_b32 s3, 0
.LBB0_2:                                ; =>This Inner Loop Header: Depth=1
	s_load_b64 s[28:29], s[26:27], 0x0
                                        ; implicit-def: $vgpr6_vgpr7
	s_mov_b32 s2, exec_lo
	s_wait_kmcnt 0x0
	v_or_b32_e32 v9, s29, v11
	s_delay_alu instid0(VALU_DEP_1)
	v_cmpx_ne_u64_e32 0, v[8:9]
	s_wait_alu 0xfffe
	s_xor_b32 s30, exec_lo, s2
	s_cbranch_execz .LBB0_4
; %bb.3:                                ;   in Loop: Header=BB0_2 Depth=1
	s_cvt_f32_u32 s2, s28
	s_cvt_f32_u32 s31, s29
	s_sub_nc_u64 s[36:37], 0, s[28:29]
	s_wait_alu 0xfffe
	s_delay_alu instid0(SALU_CYCLE_1) | instskip(SKIP_1) | instid1(SALU_CYCLE_2)
	s_fmamk_f32 s2, s31, 0x4f800000, s2
	s_wait_alu 0xfffe
	v_s_rcp_f32 s2, s2
	s_delay_alu instid0(TRANS32_DEP_1) | instskip(SKIP_1) | instid1(SALU_CYCLE_2)
	s_mul_f32 s2, s2, 0x5f7ffffc
	s_wait_alu 0xfffe
	s_mul_f32 s31, s2, 0x2f800000
	s_wait_alu 0xfffe
	s_delay_alu instid0(SALU_CYCLE_2) | instskip(SKIP_1) | instid1(SALU_CYCLE_2)
	s_trunc_f32 s31, s31
	s_wait_alu 0xfffe
	s_fmamk_f32 s2, s31, 0xcf800000, s2
	s_cvt_u32_f32 s35, s31
	s_wait_alu 0xfffe
	s_delay_alu instid0(SALU_CYCLE_1) | instskip(SKIP_1) | instid1(SALU_CYCLE_2)
	s_cvt_u32_f32 s34, s2
	s_wait_alu 0xfffe
	s_mul_u64 s[38:39], s[36:37], s[34:35]
	s_wait_alu 0xfffe
	s_mul_hi_u32 s41, s34, s39
	s_mul_i32 s40, s34, s39
	s_mul_hi_u32 s2, s34, s38
	s_mul_i32 s33, s35, s38
	s_wait_alu 0xfffe
	s_add_nc_u64 s[40:41], s[2:3], s[40:41]
	s_mul_hi_u32 s31, s35, s38
	s_mul_hi_u32 s42, s35, s39
	s_add_co_u32 s2, s40, s33
	s_wait_alu 0xfffe
	s_add_co_ci_u32 s2, s41, s31
	s_mul_i32 s38, s35, s39
	s_add_co_ci_u32 s39, s42, 0
	s_wait_alu 0xfffe
	s_add_nc_u64 s[38:39], s[2:3], s[38:39]
	s_wait_alu 0xfffe
	v_add_co_u32 v1, s2, s34, s38
	s_delay_alu instid0(VALU_DEP_1) | instskip(SKIP_1) | instid1(VALU_DEP_1)
	s_cmp_lg_u32 s2, 0
	s_add_co_ci_u32 s35, s35, s39
	v_readfirstlane_b32 s34, v1
	s_wait_alu 0xfffe
	s_delay_alu instid0(VALU_DEP_1)
	s_mul_u64 s[36:37], s[36:37], s[34:35]
	s_wait_alu 0xfffe
	s_mul_hi_u32 s39, s34, s37
	s_mul_i32 s38, s34, s37
	s_mul_hi_u32 s2, s34, s36
	s_mul_i32 s33, s35, s36
	s_wait_alu 0xfffe
	s_add_nc_u64 s[38:39], s[2:3], s[38:39]
	s_mul_hi_u32 s31, s35, s36
	s_mul_hi_u32 s34, s35, s37
	s_wait_alu 0xfffe
	s_add_co_u32 s2, s38, s33
	s_add_co_ci_u32 s2, s39, s31
	s_mul_i32 s36, s35, s37
	s_add_co_ci_u32 s37, s34, 0
	s_wait_alu 0xfffe
	s_add_nc_u64 s[36:37], s[2:3], s[36:37]
	s_wait_alu 0xfffe
	v_add_co_u32 v1, s2, v1, s36
	s_delay_alu instid0(VALU_DEP_1) | instskip(SKIP_1) | instid1(VALU_DEP_1)
	s_cmp_lg_u32 s2, 0
	s_add_co_ci_u32 s2, s35, s37
	v_mul_hi_u32 v9, v10, v1
	s_wait_alu 0xfffe
	v_mad_co_u64_u32 v[6:7], null, v10, s2, 0
	v_mad_co_u64_u32 v[12:13], null, v11, v1, 0
	;; [unrolled: 1-line block ×3, first 2 shown]
	s_delay_alu instid0(VALU_DEP_3) | instskip(SKIP_1) | instid1(VALU_DEP_4)
	v_add_co_u32 v1, vcc_lo, v9, v6
	s_wait_alu 0xfffd
	v_add_co_ci_u32_e32 v6, vcc_lo, 0, v7, vcc_lo
	s_delay_alu instid0(VALU_DEP_2) | instskip(SKIP_1) | instid1(VALU_DEP_2)
	v_add_co_u32 v1, vcc_lo, v1, v12
	s_wait_alu 0xfffd
	v_add_co_ci_u32_e32 v1, vcc_lo, v6, v13, vcc_lo
	s_wait_alu 0xfffd
	v_add_co_ci_u32_e32 v6, vcc_lo, 0, v15, vcc_lo
	s_delay_alu instid0(VALU_DEP_2) | instskip(SKIP_1) | instid1(VALU_DEP_2)
	v_add_co_u32 v1, vcc_lo, v1, v14
	s_wait_alu 0xfffd
	v_add_co_ci_u32_e32 v9, vcc_lo, 0, v6, vcc_lo
	s_delay_alu instid0(VALU_DEP_2) | instskip(SKIP_1) | instid1(VALU_DEP_3)
	v_mul_lo_u32 v12, s29, v1
	v_mad_co_u64_u32 v[6:7], null, s28, v1, 0
	v_mul_lo_u32 v13, s28, v9
	s_delay_alu instid0(VALU_DEP_2) | instskip(NEXT) | instid1(VALU_DEP_2)
	v_sub_co_u32 v6, vcc_lo, v10, v6
	v_add3_u32 v7, v7, v13, v12
	s_delay_alu instid0(VALU_DEP_1) | instskip(SKIP_1) | instid1(VALU_DEP_1)
	v_sub_nc_u32_e32 v12, v11, v7
	s_wait_alu 0xfffd
	v_subrev_co_ci_u32_e64 v12, s2, s29, v12, vcc_lo
	v_add_co_u32 v13, s2, v1, 2
	s_wait_alu 0xf1ff
	v_add_co_ci_u32_e64 v14, s2, 0, v9, s2
	v_sub_co_u32 v15, s2, v6, s28
	v_sub_co_ci_u32_e32 v7, vcc_lo, v11, v7, vcc_lo
	s_wait_alu 0xf1ff
	v_subrev_co_ci_u32_e64 v12, s2, 0, v12, s2
	s_delay_alu instid0(VALU_DEP_3) | instskip(NEXT) | instid1(VALU_DEP_3)
	v_cmp_le_u32_e32 vcc_lo, s28, v15
	v_cmp_eq_u32_e64 s2, s29, v7
	s_wait_alu 0xfffd
	v_cndmask_b32_e64 v15, 0, -1, vcc_lo
	v_cmp_le_u32_e32 vcc_lo, s29, v12
	s_wait_alu 0xfffd
	v_cndmask_b32_e64 v16, 0, -1, vcc_lo
	v_cmp_le_u32_e32 vcc_lo, s28, v6
	;; [unrolled: 3-line block ×3, first 2 shown]
	s_wait_alu 0xfffd
	v_cndmask_b32_e64 v17, 0, -1, vcc_lo
	v_cmp_eq_u32_e32 vcc_lo, s29, v12
	s_wait_alu 0xf1ff
	s_delay_alu instid0(VALU_DEP_2)
	v_cndmask_b32_e64 v6, v17, v6, s2
	s_wait_alu 0xfffd
	v_cndmask_b32_e32 v12, v16, v15, vcc_lo
	v_add_co_u32 v15, vcc_lo, v1, 1
	s_wait_alu 0xfffd
	v_add_co_ci_u32_e32 v16, vcc_lo, 0, v9, vcc_lo
	s_delay_alu instid0(VALU_DEP_3) | instskip(SKIP_1) | instid1(VALU_DEP_2)
	v_cmp_ne_u32_e32 vcc_lo, 0, v12
	s_wait_alu 0xfffd
	v_dual_cndmask_b32 v7, v16, v14 :: v_dual_cndmask_b32 v12, v15, v13
	v_cmp_ne_u32_e32 vcc_lo, 0, v6
	s_wait_alu 0xfffd
	s_delay_alu instid0(VALU_DEP_2) | instskip(NEXT) | instid1(VALU_DEP_3)
	v_cndmask_b32_e32 v7, v9, v7, vcc_lo
	v_cndmask_b32_e32 v6, v1, v12, vcc_lo
.LBB0_4:                                ;   in Loop: Header=BB0_2 Depth=1
	s_wait_alu 0xfffe
	s_and_not1_saveexec_b32 s2, s30
	s_cbranch_execz .LBB0_6
; %bb.5:                                ;   in Loop: Header=BB0_2 Depth=1
	v_cvt_f32_u32_e32 v1, s28
	s_sub_co_i32 s30, 0, s28
	s_delay_alu instid0(VALU_DEP_1) | instskip(NEXT) | instid1(TRANS32_DEP_1)
	v_rcp_iflag_f32_e32 v1, v1
	v_mul_f32_e32 v1, 0x4f7ffffe, v1
	s_delay_alu instid0(VALU_DEP_1) | instskip(SKIP_1) | instid1(VALU_DEP_1)
	v_cvt_u32_f32_e32 v1, v1
	s_wait_alu 0xfffe
	v_mul_lo_u32 v6, s30, v1
	s_delay_alu instid0(VALU_DEP_1) | instskip(NEXT) | instid1(VALU_DEP_1)
	v_mul_hi_u32 v6, v1, v6
	v_add_nc_u32_e32 v1, v1, v6
	s_delay_alu instid0(VALU_DEP_1) | instskip(NEXT) | instid1(VALU_DEP_1)
	v_mul_hi_u32 v1, v10, v1
	v_mul_lo_u32 v6, v1, s28
	v_add_nc_u32_e32 v7, 1, v1
	s_delay_alu instid0(VALU_DEP_2) | instskip(NEXT) | instid1(VALU_DEP_1)
	v_sub_nc_u32_e32 v6, v10, v6
	v_subrev_nc_u32_e32 v9, s28, v6
	v_cmp_le_u32_e32 vcc_lo, s28, v6
	s_wait_alu 0xfffd
	s_delay_alu instid0(VALU_DEP_2) | instskip(NEXT) | instid1(VALU_DEP_1)
	v_dual_cndmask_b32 v6, v6, v9 :: v_dual_cndmask_b32 v1, v1, v7
	v_cmp_le_u32_e32 vcc_lo, s28, v6
	s_delay_alu instid0(VALU_DEP_2) | instskip(SKIP_1) | instid1(VALU_DEP_1)
	v_add_nc_u32_e32 v7, 1, v1
	s_wait_alu 0xfffd
	v_dual_cndmask_b32 v6, v1, v7 :: v_dual_mov_b32 v7, v8
.LBB0_6:                                ;   in Loop: Header=BB0_2 Depth=1
	s_wait_alu 0xfffe
	s_or_b32 exec_lo, exec_lo, s2
	s_delay_alu instid0(VALU_DEP_1) | instskip(NEXT) | instid1(VALU_DEP_2)
	v_mul_lo_u32 v1, v7, s28
	v_mul_lo_u32 v9, v6, s29
	s_load_b64 s[30:31], s[22:23], 0x0
	v_mad_co_u64_u32 v[12:13], null, v6, s28, 0
	s_load_b64 s[28:29], s[20:21], 0x0
	s_add_nc_u64 s[24:25], s[24:25], 1
	s_add_nc_u64 s[20:21], s[20:21], 8
	s_wait_alu 0xfffe
	v_cmp_ge_u64_e64 s2, s[24:25], s[6:7]
	s_add_nc_u64 s[22:23], s[22:23], 8
	s_add_nc_u64 s[26:27], s[26:27], 8
	v_add3_u32 v1, v13, v9, v1
	v_sub_co_u32 v9, vcc_lo, v10, v12
	s_wait_alu 0xfffd
	s_delay_alu instid0(VALU_DEP_2) | instskip(SKIP_2) | instid1(VALU_DEP_1)
	v_sub_co_ci_u32_e32 v1, vcc_lo, v11, v1, vcc_lo
	s_and_b32 vcc_lo, exec_lo, s2
	s_wait_kmcnt 0x0
	v_mul_lo_u32 v10, s30, v1
	v_mul_lo_u32 v11, s31, v9
	v_mad_co_u64_u32 v[2:3], null, s30, v9, v[2:3]
	v_mul_lo_u32 v1, s28, v1
	v_mul_lo_u32 v12, s29, v9
	v_mad_co_u64_u32 v[4:5], null, s28, v9, v[4:5]
	s_delay_alu instid0(VALU_DEP_4) | instskip(NEXT) | instid1(VALU_DEP_2)
	v_add3_u32 v3, v11, v3, v10
	v_add3_u32 v5, v12, v5, v1
	s_wait_alu 0xfffe
	s_cbranch_vccnz .LBB0_9
; %bb.7:                                ;   in Loop: Header=BB0_2 Depth=1
	v_dual_mov_b32 v11, v7 :: v_dual_mov_b32 v10, v6
	s_branch .LBB0_2
.LBB0_8:
	v_dual_mov_b32 v5, v3 :: v_dual_mov_b32 v4, v2
	s_delay_alu instid0(VALU_DEP_2)
	v_dual_mov_b32 v6, v10 :: v_dual_mov_b32 v7, v11
.LBB0_9:
	s_load_b64 s[0:1], s[0:1], 0x28
	v_mul_hi_u32 v8, 0x10db20b, v0
	s_lshl_b64 s[6:7], s[6:7], 3
                                        ; implicit-def: $vgpr26
                                        ; implicit-def: $vgpr27
	s_wait_alu 0xfffe
	s_add_nc_u64 s[2:3], s[14:15], s[6:7]
	s_wait_kmcnt 0x0
	v_cmp_gt_u64_e32 vcc_lo, s[0:1], v[6:7]
	v_cmp_le_u64_e64 s0, s[0:1], v[6:7]
	s_delay_alu instid0(VALU_DEP_1)
	s_and_saveexec_b32 s1, s0
	s_wait_alu 0xfffe
	s_xor_b32 s0, exec_lo, s1
; %bb.10:
	v_mul_u32_u24_e32 v1, 0xf3, v8
                                        ; implicit-def: $vgpr8
                                        ; implicit-def: $vgpr2_vgpr3
	s_delay_alu instid0(VALU_DEP_1) | instskip(NEXT) | instid1(VALU_DEP_1)
	v_sub_nc_u32_e32 v26, v0, v1
                                        ; implicit-def: $vgpr0
	v_add_nc_u32_e32 v27, 0xf3, v26
; %bb.11:
	s_wait_alu 0xfffe
	s_or_saveexec_b32 s1, s0
	s_load_b64 s[2:3], s[2:3], 0x0
                                        ; implicit-def: $vgpr9
                                        ; implicit-def: $vgpr19
                                        ; implicit-def: $vgpr15
                                        ; implicit-def: $vgpr11
                                        ; implicit-def: $vgpr17
                                        ; implicit-def: $vgpr13
                                        ; implicit-def: $vgpr1
                                        ; implicit-def: $vgpr25
                                        ; implicit-def: $vgpr23
	s_xor_b32 exec_lo, exec_lo, s1
	s_cbranch_execz .LBB0_15
; %bb.12:
	s_add_nc_u64 s[6:7], s[12:13], s[6:7]
	v_mul_u32_u24_e32 v1, 0xf3, v8
	s_load_b64 s[6:7], s[6:7], 0x0
	s_delay_alu instid0(VALU_DEP_1) | instskip(SKIP_1) | instid1(VALU_DEP_2)
	v_sub_nc_u32_e32 v26, v0, v1
	v_lshlrev_b64_e32 v[1:2], 3, v[2:3]
	v_mad_co_u64_u32 v[8:9], null, s18, v26, 0
	v_add_nc_u32_e32 v21, 0x288, v26
	v_add_nc_u32_e32 v22, 0x510, v26
	s_delay_alu instid0(VALU_DEP_1) | instskip(NEXT) | instid1(VALU_DEP_4)
	v_mad_co_u64_u32 v[12:13], null, s18, v22, 0
	v_mov_b32_e32 v0, v9
	s_delay_alu instid0(VALU_DEP_4)
	v_mad_co_u64_u32 v[10:11], null, s18, v21, 0
	s_wait_kmcnt 0x0
	v_mul_lo_u32 v3, s7, v6
	v_mul_lo_u32 v9, s6, v7
	v_mad_co_u64_u32 v[14:15], null, s6, v6, 0
	v_add_nc_u32_e32 v27, 0xf3, v26
	v_mad_co_u64_u32 v[18:19], null, s19, v26, v[0:1]
	v_mov_b32_e32 v0, v11
	s_mov_b32 s6, exec_lo
	s_delay_alu instid0(VALU_DEP_3) | instskip(SKIP_3) | instid1(VALU_DEP_3)
	v_mad_co_u64_u32 v[16:17], null, s18, v27, 0
	v_add3_u32 v15, v15, v9, v3
	v_dual_mov_b32 v3, v13 :: v_dual_add_nc_u32 v24, 0x37b, v26
	v_mov_b32_e32 v9, v18
	v_lshlrev_b64_e32 v[14:15], 3, v[14:15]
	v_mov_b32_e32 v13, v17
	s_delay_alu instid0(VALU_DEP_4) | instskip(SKIP_1) | instid1(VALU_DEP_4)
	v_mad_co_u64_u32 v[19:20], null, s18, v24, 0
	v_mad_co_u64_u32 v[17:18], null, s19, v21, v[0:1]
	v_add_co_u32 v0, s0, s8, v14
	v_add_nc_u32_e32 v25, 0x603, v26
	v_mad_co_u64_u32 v[21:22], null, s19, v22, v[3:4]
	s_wait_alu 0xf1ff
	v_add_co_ci_u32_e64 v3, s0, s9, v15, s0
	v_mad_co_u64_u32 v[14:15], null, s19, v27, v[13:14]
	v_add_co_u32 v1, s0, v0, v1
	v_mov_b32_e32 v0, v20
	v_mad_co_u64_u32 v[22:23], null, s18, v25, 0
	v_mov_b32_e32 v11, v17
	v_mov_b32_e32 v17, v14
	s_delay_alu instid0(VALU_DEP_4)
	v_mad_co_u64_u32 v[14:15], null, s19, v24, v[0:1]
	v_mov_b32_e32 v13, v21
	s_wait_alu 0xf1ff
	v_add_co_ci_u32_e64 v2, s0, v3, v2, s0
	v_mov_b32_e32 v0, v23
	v_lshlrev_b64_e32 v[8:9], 3, v[8:9]
	v_lshlrev_b64_e32 v[12:13], 3, v[12:13]
	v_mov_b32_e32 v20, v14
	v_lshlrev_b64_e32 v[10:11], 3, v[10:11]
	v_mad_co_u64_u32 v[23:24], null, s19, v25, v[0:1]
	v_add_co_u32 v8, s0, v1, v8
	s_wait_alu 0xf1ff
	v_add_co_ci_u32_e64 v9, s0, v2, v9, s0
	s_delay_alu instid0(VALU_DEP_4)
	v_add_co_u32 v10, s0, v1, v10
	v_lshlrev_b64_e32 v[15:16], 3, v[16:17]
	s_wait_alu 0xf1ff
	v_add_co_ci_u32_e64 v11, s0, v2, v11, s0
	v_add_co_u32 v12, s0, v1, v12
	v_lshlrev_b64_e32 v[17:18], 3, v[19:20]
	s_wait_alu 0xf1ff
	v_add_co_ci_u32_e64 v13, s0, v2, v13, s0
	;; [unrolled: 4-line block ×3, first 2 shown]
	v_add_co_u32 v16, s0, v1, v17
	s_wait_alu 0xf1ff
	v_add_co_ci_u32_e64 v17, s0, v2, v18, s0
	v_add_co_u32 v22, s0, v1, v14
	s_wait_alu 0xf1ff
	v_add_co_ci_u32_e64 v23, s0, v2, v15, s0
	s_clause 0x5
	global_load_b64 v[8:9], v[8:9], off
	global_load_b64 v[18:19], v[10:11], off
	;; [unrolled: 1-line block ×6, first 2 shown]
                                        ; implicit-def: $vgpr22
                                        ; implicit-def: $vgpr24
                                        ; implicit-def: $vgpr0
	v_cmpx_gt_u32_e32 0xa2, v26
	s_cbranch_execz .LBB0_14
; %bb.13:
	v_add_nc_u32_e32 v31, 0x6f6, v26
	s_delay_alu instid0(VALU_DEP_1) | instskip(SKIP_1) | instid1(VALU_DEP_1)
	v_mad_co_u64_u32 v[24:25], null, s18, v31, 0
	v_add_nc_u32_e32 v30, 0x46e, v26
	v_mad_co_u64_u32 v[22:23], null, s18, v30, 0
	s_delay_alu instid0(VALU_DEP_1) | instskip(NEXT) | instid1(VALU_DEP_1)
	v_dual_mov_b32 v3, v23 :: v_dual_add_nc_u32 v28, 0x1e6, v26
	v_mad_co_u64_u32 v[20:21], null, s18, v28, 0
	s_delay_alu instid0(VALU_DEP_1) | instskip(NEXT) | instid1(VALU_DEP_1)
	v_dual_mov_b32 v0, v21 :: v_dual_mov_b32 v21, v25
	v_mad_co_u64_u32 v[28:29], null, s19, v28, v[0:1]
	s_delay_alu instid0(VALU_DEP_4) | instskip(NEXT) | instid1(VALU_DEP_3)
	v_mad_co_u64_u32 v[29:30], null, s19, v30, v[3:4]
	v_mad_co_u64_u32 v[30:31], null, s19, v31, v[21:22]
	s_delay_alu instid0(VALU_DEP_3) | instskip(NEXT) | instid1(VALU_DEP_3)
	v_mov_b32_e32 v21, v28
	v_mov_b32_e32 v23, v29
	s_delay_alu instid0(VALU_DEP_3) | instskip(NEXT) | instid1(VALU_DEP_3)
	v_mov_b32_e32 v25, v30
	v_lshlrev_b64_e32 v[20:21], 3, v[20:21]
	s_delay_alu instid0(VALU_DEP_3) | instskip(NEXT) | instid1(VALU_DEP_3)
	v_lshlrev_b64_e32 v[22:23], 3, v[22:23]
	v_lshlrev_b64_e32 v[24:25], 3, v[24:25]
	s_delay_alu instid0(VALU_DEP_3) | instskip(SKIP_1) | instid1(VALU_DEP_4)
	v_add_co_u32 v20, s0, v1, v20
	s_wait_alu 0xf1ff
	v_add_co_ci_u32_e64 v21, s0, v2, v21, s0
	s_delay_alu instid0(VALU_DEP_4)
	v_add_co_u32 v22, s0, v1, v22
	s_wait_alu 0xf1ff
	v_add_co_ci_u32_e64 v23, s0, v2, v23, s0
	v_add_co_u32 v24, s0, v1, v24
	s_wait_alu 0xf1ff
	v_add_co_ci_u32_e64 v25, s0, v2, v25, s0
	s_clause 0x2
	global_load_b64 v[0:1], v[20:21], off
	global_load_b64 v[22:23], v[22:23], off
	;; [unrolled: 1-line block ×3, first 2 shown]
.LBB0_14:
	s_wait_alu 0xfffe
	s_or_b32 exec_lo, exec_lo, s6
.LBB0_15:
	s_delay_alu instid0(SALU_CYCLE_1)
	s_or_b32 exec_lo, exec_lo, s1
	s_wait_loadcnt 0x0
	v_dual_add_f32 v2, v18, v14 :: v_dual_add_f32 v21, v16, v12
	v_add_f32_e32 v28, v24, v22
	v_dual_add_f32 v3, v8, v18 :: v_dual_sub_f32 v20, v19, v15
	v_add_f32_e32 v29, v0, v22
	v_mad_u32_u24 v34, v26, 12, 0
	s_delay_alu instid0(VALU_DEP_4)
	v_fmac_f32_e32 v0, -0.5, v28
	v_fmac_f32_e32 v8, -0.5, v2
	v_sub_f32_e32 v28, v23, v25
	v_dual_add_f32 v29, v24, v29 :: v_dual_add_f32 v2, v10, v16
	v_dual_add_f32 v3, v3, v14 :: v_dual_fmac_f32 v10, -0.5, v21
	v_add_nc_u32_e32 v35, 0x16c8, v34
	v_fmamk_f32 v21, v20, 0x3f5db3d7, v8
	v_fmac_f32_e32 v8, 0xbf5db3d7, v20
	v_sub_f32_e32 v20, v17, v13
	v_fmamk_f32 v30, v28, 0x3f5db3d7, v0
	v_fmac_f32_e32 v0, 0xbf5db3d7, v28
	v_mad_i32_i24 v33, v27, 12, 0
	v_cmp_gt_u32_e64 s0, 0xa2, v26
	v_dual_add_f32 v2, v2, v12 :: v_dual_fmamk_f32 v31, v20, 0x3f5db3d7, v10
	v_fmac_f32_e32 v10, 0xbf5db3d7, v20
	ds_store_2addr_b32 v34, v3, v21 offset1:1
	ds_store_b32 v34, v8 offset:8
	ds_store_2addr_b32 v33, v2, v31 offset1:1
	ds_store_b32 v33, v10 offset:8
	s_and_saveexec_b32 s1, s0
	s_cbranch_execz .LBB0_17
; %bb.16:
	ds_store_2addr_b32 v35, v29, v30 offset1:1
	ds_store_b32 v34, v0 offset:5840
.LBB0_17:
	s_wait_alu 0xfffe
	s_or_b32 exec_lo, exec_lo, s1
	v_lshlrev_b32_e32 v10, 3, v26
	v_lshlrev_b32_e32 v8, 3, v27
	global_wb scope:SCOPE_SE
	s_wait_dscnt 0x0
	s_wait_kmcnt 0x0
	s_barrier_signal -1
	s_barrier_wait -1
	v_sub_nc_u32_e32 v28, v34, v10
	v_sub_nc_u32_e32 v31, v33, v8
	global_inv scope:SCOPE_SE
	v_sub_nc_u32_e32 v10, 0, v10
	v_add_nc_u32_e32 v2, 0xa00, v28
	v_add_nc_u32_e32 v3, 0x1440, v28
	ds_load_2addr_b32 v[20:21], v2 offset0:8 offset1:251
	ds_load_2addr_b32 v[2:3], v3 offset1:243
	ds_load_b32 v32, v28
	ds_load_b32 v31, v31
	v_add_nc_u32_e32 v28, v34, v10
	s_and_saveexec_b32 s1, s0
	s_cbranch_execz .LBB0_19
; %bb.18:
	ds_load_b32 v29, v28 offset:1944
	ds_load_b32 v30, v28 offset:4536
	;; [unrolled: 1-line block ×3, first 2 shown]
.LBB0_19:
	s_wait_alu 0xfffe
	s_or_b32 exec_lo, exec_lo, s1
	v_add_f32_e32 v10, v19, v15
	v_dual_add_f32 v19, v9, v19 :: v_dual_sub_f32 v14, v18, v14
	v_sub_nc_u32_e32 v8, 0, v8
	global_wb scope:SCOPE_SE
	s_wait_dscnt 0x0
	v_dual_fmac_f32 v9, -0.5, v10 :: v_dual_add_f32 v10, v11, v17
	v_add_f32_e32 v17, v17, v13
	v_add_f32_e32 v18, v25, v23
	s_delay_alu instid0(VALU_DEP_3) | instskip(SKIP_1) | instid1(VALU_DEP_4)
	v_dual_add_f32 v19, v19, v15 :: v_dual_fmamk_f32 v36, v14, 0xbf5db3d7, v9
	v_fmac_f32_e32 v9, 0x3f5db3d7, v14
	v_dual_fmac_f32 v11, -0.5, v17 :: v_dual_sub_f32 v12, v16, v12
	s_delay_alu instid0(VALU_DEP_4) | instskip(SKIP_1) | instid1(VALU_DEP_3)
	v_dual_add_f32 v14, v1, v23 :: v_dual_fmac_f32 v1, -0.5, v18
	v_sub_f32_e32 v16, v22, v24
	v_dual_add_f32 v10, v10, v13 :: v_dual_fmamk_f32 v13, v12, 0xbf5db3d7, v11
	s_delay_alu instid0(VALU_DEP_3) | instskip(NEXT) | instid1(VALU_DEP_3)
	v_dual_fmac_f32 v11, 0x3f5db3d7, v12 :: v_dual_add_f32 v22, v25, v14
	v_fmamk_f32 v15, v16, 0xbf5db3d7, v1
	v_fmac_f32_e32 v1, 0x3f5db3d7, v16
	s_barrier_signal -1
	s_barrier_wait -1
	global_inv scope:SCOPE_SE
	ds_store_2addr_b32 v34, v19, v36 offset1:1
	ds_store_b32 v34, v9 offset:8
	ds_store_2addr_b32 v33, v10, v13 offset1:1
	ds_store_b32 v33, v11 offset:8
	s_and_saveexec_b32 s1, s0
	s_cbranch_execz .LBB0_21
; %bb.20:
	ds_store_2addr_b32 v35, v22, v15 offset1:1
	ds_store_b32 v34, v1 offset:5840
.LBB0_21:
	s_wait_alu 0xfffe
	s_or_b32 exec_lo, exec_lo, s1
	v_add_nc_u32_e32 v9, 0xa00, v28
	v_add_nc_u32_e32 v12, 0x1440, v28
	;; [unrolled: 1-line block ×3, first 2 shown]
	global_wb scope:SCOPE_SE
	s_wait_dscnt 0x0
	s_barrier_signal -1
	s_barrier_wait -1
	global_inv scope:SCOPE_SE
	ds_load_2addr_b32 v[10:11], v9 offset0:8 offset1:251
	ds_load_2addr_b32 v[8:9], v12 offset1:243
	ds_load_b32 v24, v28
	ds_load_b32 v23, v17
	s_and_saveexec_b32 s1, s0
	s_cbranch_execz .LBB0_23
; %bb.22:
	ds_load_b32 v22, v28 offset:1944
	ds_load_b32 v15, v28 offset:4536
	;; [unrolled: 1-line block ×3, first 2 shown]
.LBB0_23:
	s_wait_alu 0xfffe
	s_or_b32 exec_lo, exec_lo, s1
	v_and_b32_e32 v13, 0xff, v26
	v_and_b32_e32 v14, 0xffff, v27
	s_delay_alu instid0(VALU_DEP_2) | instskip(NEXT) | instid1(VALU_DEP_2)
	v_mul_lo_u16 v12, 0xab, v13
	v_mul_u32_u24_e32 v18, 0xaaab, v14
	s_delay_alu instid0(VALU_DEP_2) | instskip(NEXT) | instid1(VALU_DEP_2)
	v_lshrrev_b16 v19, 9, v12
	v_lshrrev_b32_e32 v18, 17, v18
	s_delay_alu instid0(VALU_DEP_2) | instskip(NEXT) | instid1(VALU_DEP_2)
	v_mul_lo_u16 v25, v19, 3
	v_mul_lo_u16 v34, v18, 3
	v_mul_u32_u24_e32 v18, 36, v18
	s_delay_alu instid0(VALU_DEP_3) | instskip(NEXT) | instid1(VALU_DEP_3)
	v_sub_nc_u16 v25, v26, v25
	v_sub_nc_u16 v34, v27, v34
	s_delay_alu instid0(VALU_DEP_2) | instskip(NEXT) | instid1(VALU_DEP_2)
	v_and_b32_e32 v25, 0xff, v25
	v_and_b32_e32 v34, 0xffff, v34
	s_delay_alu instid0(VALU_DEP_2) | instskip(NEXT) | instid1(VALU_DEP_2)
	v_lshlrev_b32_e32 v36, 4, v25
	v_lshlrev_b32_e32 v37, 4, v34
	s_clause 0x1
	global_load_b128 v[42:45], v36, s[4:5]
	global_load_b128 v[46:49], v37, s[4:5]
	v_add_nc_u32_e32 v16, 0x1e6, v26
	s_wait_loadcnt 0x1
	v_mul_f32_e32 v40, v20, v43
	s_wait_loadcnt_dscnt 0x3
	s_delay_alu instid0(VALU_DEP_2) | instskip(SKIP_1) | instid1(VALU_DEP_3)
	v_dual_mul_f32 v37, v11, v47 :: v_dual_and_b32 v12, 0xffff, v16
	v_mul_f32_e32 v39, v21, v47
	v_dual_fmac_f32 v40, v10, v42 :: v_dual_and_b32 v19, 0xffff, v19
	v_mul_f32_e32 v36, v2, v45
	s_delay_alu instid0(VALU_DEP_4) | instskip(SKIP_1) | instid1(VALU_DEP_4)
	v_mul_u32_u24_e32 v33, 0xaaab, v12
	v_lshlrev_b32_e32 v25, 2, v25
	v_mul_u32_u24_e32 v19, 36, v19
	s_wait_dscnt 0x2
	v_dual_fmac_f32 v39, v11, v46 :: v_dual_fmac_f32 v36, v8, v44
	v_lshrrev_b32_e32 v33, 17, v33
	v_mul_f32_e32 v38, v9, v49
	s_delay_alu instid0(VALU_DEP_2) | instskip(SKIP_1) | instid1(VALU_DEP_3)
	v_mul_lo_u16 v35, v33, 3
	v_mul_lo_u16 v33, v33, 9
	v_fma_f32 v11, v3, v48, -v38
	s_delay_alu instid0(VALU_DEP_3) | instskip(NEXT) | instid1(VALU_DEP_1)
	v_sub_nc_u16 v35, v16, v35
	v_and_b32_e32 v54, 0xffff, v35
	s_delay_alu instid0(VALU_DEP_1)
	v_lshlrev_b32_e32 v35, 4, v54
	global_load_b128 v[50:53], v35, s[4:5]
	v_add3_u32 v35, 0, v19, v25
	v_dual_mul_f32 v19, v3, v49 :: v_dual_lshlrev_b32 v34, 2, v34
	v_mul_f32_e32 v25, v8, v45
	global_wb scope:SCOPE_SE
	s_wait_loadcnt_dscnt 0x0
	s_barrier_signal -1
	s_barrier_wait -1
	v_add3_u32 v34, 0, v18, v34
	v_mul_f32_e32 v18, v10, v43
	v_fma_f32 v10, v21, v46, -v37
	global_inv scope:SCOPE_SE
	v_fmac_f32_e32 v19, v9, v48
	v_fma_f32 v41, v20, v42, -v18
	v_fma_f32 v42, v2, v44, -v25
	v_mul_f32_e32 v37, v30, v51
	v_dual_mul_f32 v2, v15, v51 :: v_dual_mul_f32 v3, v1, v53
	s_delay_alu instid0(VALU_DEP_2) | instskip(NEXT) | instid1(VALU_DEP_2)
	v_dual_mul_f32 v8, v0, v53 :: v_dual_fmac_f32 v37, v15, v50
	v_fma_f32 v9, v30, v50, -v2
	s_delay_alu instid0(VALU_DEP_3) | instskip(NEXT) | instid1(VALU_DEP_3)
	v_fma_f32 v38, v0, v52, -v3
	v_dual_fmac_f32 v8, v1, v52 :: v_dual_add_f32 v3, v31, v10
	v_dual_add_f32 v0, v32, v41 :: v_dual_add_f32 v1, v41, v42
	v_dual_sub_f32 v2, v40, v36 :: v_dual_add_f32 v15, v10, v11
	v_sub_f32_e32 v18, v39, v19
	s_delay_alu instid0(VALU_DEP_3) | instskip(NEXT) | instid1(VALU_DEP_4)
	v_add_f32_e32 v0, v0, v42
	v_dual_fmac_f32 v32, -0.5, v1 :: v_dual_add_f32 v1, v3, v11
	s_delay_alu instid0(VALU_DEP_4) | instskip(SKIP_3) | instid1(VALU_DEP_3)
	v_fmac_f32_e32 v31, -0.5, v15
	v_add_f32_e32 v3, v9, v38
	v_add_f32_e32 v15, v29, v9
	v_dual_sub_f32 v21, v37, v8 :: v_dual_lshlrev_b32 v30, 2, v54
	v_fmac_f32_e32 v29, -0.5, v3
	v_fmamk_f32 v25, v2, 0x3f5db3d7, v32
	v_fmac_f32_e32 v32, 0xbf5db3d7, v2
	v_dual_fmamk_f32 v2, v18, 0x3f5db3d7, v31 :: v_dual_add_f32 v15, v15, v38
	s_delay_alu instid0(VALU_DEP_4)
	v_fmamk_f32 v20, v21, 0x3f5db3d7, v29
	v_fmac_f32_e32 v29, 0xbf5db3d7, v21
	v_fmac_f32_e32 v31, 0xbf5db3d7, v18
	ds_store_2addr_b32 v35, v0, v25 offset1:3
	ds_store_b32 v35, v32 offset:24
	ds_store_2addr_b32 v34, v1, v2 offset1:3
	ds_store_b32 v34, v31 offset:24
	s_and_saveexec_b32 s1, s0
	s_cbranch_execz .LBB0_25
; %bb.24:
	v_and_b32_e32 v0, 0xffff, v33
	s_delay_alu instid0(VALU_DEP_1) | instskip(NEXT) | instid1(VALU_DEP_1)
	v_lshlrev_b32_e32 v0, 2, v0
	v_add3_u32 v0, 0, v30, v0
	ds_store_2addr_b32 v0, v15, v20 offset1:3
	ds_store_b32 v0, v29 offset:24
.LBB0_25:
	s_wait_alu 0xfffe
	s_or_b32 exec_lo, exec_lo, s1
	v_add_nc_u32_e32 v0, 0xa00, v28
	v_add_nc_u32_e32 v1, 0x1440, v28
	global_wb scope:SCOPE_SE
	s_wait_dscnt 0x0
	s_barrier_signal -1
	s_barrier_wait -1
	global_inv scope:SCOPE_SE
	ds_load_2addr_b32 v[2:3], v0 offset0:8 offset1:251
	ds_load_2addr_b32 v[0:1], v1 offset1:243
	ds_load_b32 v25, v28
	ds_load_b32 v21, v17
	v_lshl_add_u32 v18, v26, 2, 0
	s_and_saveexec_b32 s1, s0
	s_cbranch_execz .LBB0_27
; %bb.26:
	ds_load_b32 v20, v28 offset:4536
	ds_load_b32 v15, v18 offset:1944
	;; [unrolled: 1-line block ×3, first 2 shown]
.LBB0_27:
	s_wait_alu 0xfffe
	s_or_b32 exec_lo, exec_lo, s1
	v_add_f32_e32 v31, v40, v36
	v_add_f32_e32 v32, v24, v40
	v_dual_sub_f32 v40, v41, v42 :: v_dual_add_f32 v41, v39, v19
	s_delay_alu instid0(VALU_DEP_3) | instskip(NEXT) | instid1(VALU_DEP_3)
	v_dual_sub_f32 v9, v9, v38 :: v_dual_fmac_f32 v24, -0.5, v31
	v_dual_add_f32 v31, v23, v39 :: v_dual_add_f32 v36, v32, v36
	v_add_f32_e32 v39, v37, v8
	s_delay_alu instid0(VALU_DEP_4) | instskip(NEXT) | instid1(VALU_DEP_4)
	v_fmac_f32_e32 v23, -0.5, v41
	v_dual_fmamk_f32 v41, v40, 0xbf5db3d7, v24 :: v_dual_sub_f32 v10, v10, v11
	s_delay_alu instid0(VALU_DEP_3) | instskip(SKIP_1) | instid1(VALU_DEP_3)
	v_dual_add_f32 v11, v22, v37 :: v_dual_fmac_f32 v22, -0.5, v39
	v_dual_fmac_f32 v24, 0x3f5db3d7, v40 :: v_dual_add_f32 v31, v31, v19
	v_fmamk_f32 v37, v10, 0xbf5db3d7, v23
	v_fmac_f32_e32 v23, 0x3f5db3d7, v10
	s_delay_alu instid0(VALU_DEP_4)
	v_dual_add_f32 v19, v11, v8 :: v_dual_fmamk_f32 v32, v9, 0xbf5db3d7, v22
	v_fmac_f32_e32 v22, 0x3f5db3d7, v9
	global_wb scope:SCOPE_SE
	s_wait_dscnt 0x0
	s_barrier_signal -1
	s_barrier_wait -1
	global_inv scope:SCOPE_SE
	ds_store_2addr_b32 v35, v36, v41 offset1:3
	ds_store_b32 v35, v24 offset:24
	ds_store_2addr_b32 v34, v31, v37 offset1:3
	ds_store_b32 v34, v23 offset:24
	s_and_saveexec_b32 s1, s0
	s_cbranch_execz .LBB0_29
; %bb.28:
	v_and_b32_e32 v8, 0xffff, v33
	s_delay_alu instid0(VALU_DEP_1) | instskip(NEXT) | instid1(VALU_DEP_1)
	v_lshlrev_b32_e32 v8, 2, v8
	v_add3_u32 v8, 0, v30, v8
	ds_store_2addr_b32 v8, v19, v32 offset1:3
	ds_store_b32 v8, v22 offset:24
.LBB0_29:
	s_wait_alu 0xfffe
	s_or_b32 exec_lo, exec_lo, s1
	v_add_nc_u32_e32 v8, 0xa00, v28
	v_add_nc_u32_e32 v9, 0x1440, v28
	global_wb scope:SCOPE_SE
	s_wait_dscnt 0x0
	s_barrier_signal -1
	s_barrier_wait -1
	global_inv scope:SCOPE_SE
	ds_load_2addr_b32 v[10:11], v8 offset0:8 offset1:251
	ds_load_2addr_b32 v[8:9], v9 offset1:243
	ds_load_b32 v31, v28
	ds_load_b32 v30, v17
	s_and_saveexec_b32 s1, s0
	s_cbranch_execz .LBB0_31
; %bb.30:
	ds_load_b32 v32, v28 offset:4536
	ds_load_b32 v19, v18 offset:1944
	;; [unrolled: 1-line block ×3, first 2 shown]
.LBB0_31:
	s_wait_alu 0xfffe
	s_or_b32 exec_lo, exec_lo, s1
	v_mul_lo_u16 v23, v13, 57
	v_mul_u32_u24_e32 v24, 0xe38f, v14
	v_mul_u32_u24_e32 v33, 0xe38f, v12
	s_delay_alu instid0(VALU_DEP_3) | instskip(NEXT) | instid1(VALU_DEP_3)
	v_lshrrev_b16 v23, 9, v23
	v_lshrrev_b32_e32 v24, 19, v24
	s_delay_alu instid0(VALU_DEP_3) | instskip(NEXT) | instid1(VALU_DEP_3)
	v_lshrrev_b32_e32 v33, 19, v33
	v_mul_lo_u16 v34, v23, 9
	s_delay_alu instid0(VALU_DEP_3) | instskip(NEXT) | instid1(VALU_DEP_3)
	v_mul_lo_u16 v35, v24, 9
	v_mul_lo_u16 v36, v33, 9
	v_mul_u32_u24_e32 v24, 0x6c, v24
	v_mul_lo_u16 v33, v33, 27
	v_sub_nc_u16 v34, v26, v34
	v_sub_nc_u16 v35, v27, v35
	;; [unrolled: 1-line block ×3, first 2 shown]
	s_delay_alu instid0(VALU_DEP_3) | instskip(NEXT) | instid1(VALU_DEP_1)
	v_and_b32_e32 v34, 0xff, v34
	v_lshlrev_b32_e32 v37, 4, v34
	global_load_b128 v[44:47], v37, s[4:5] offset:48
	v_and_b32_e32 v35, 0xffff, v35
	s_wait_loadcnt 0x0
	v_dual_mul_f32 v39, v0, v47 :: v_dual_and_b32 v36, 0xffff, v36
	v_mul_f32_e32 v42, v2, v45
	s_delay_alu instid0(VALU_DEP_3) | instskip(NEXT) | instid1(VALU_DEP_3)
	v_lshlrev_b32_e32 v38, 4, v35
	v_lshlrev_b32_e32 v37, 4, v36
	v_and_b32_e32 v23, 0xffff, v23
	s_clause 0x1
	global_load_b128 v[48:51], v38, s[4:5] offset:48
	global_load_b128 v[52:55], v37, s[4:5] offset:48
	s_wait_dscnt 0x3
	v_fmac_f32_e32 v42, v10, v44
	v_mul_u32_u24_e32 v23, 0x6c, v23
	v_lshlrev_b32_e32 v37, 2, v34
	s_wait_dscnt 0x2
	v_dual_fmac_f32 v39, v8, v46 :: v_dual_lshlrev_b32 v34, 2, v36
	global_wb scope:SCOPE_SE
	s_wait_loadcnt_dscnt 0x0
	s_barrier_signal -1
	s_barrier_wait -1
	global_inv scope:SCOPE_SE
	v_mul_f32_e32 v41, v3, v49
	v_dual_mul_f32 v40, v20, v53 :: v_dual_lshlrev_b32 v35, 2, v35
	v_mul_f32_e32 v38, v29, v55
	v_add3_u32 v36, 0, v23, v37
	s_delay_alu instid0(VALU_DEP_3) | instskip(NEXT) | instid1(VALU_DEP_4)
	v_dual_mul_f32 v23, v10, v45 :: v_dual_fmac_f32 v40, v32, v52
	v_add3_u32 v35, 0, v24, v35
	v_dual_mul_f32 v24, v8, v47 :: v_dual_mul_f32 v45, v11, v49
	v_dual_mul_f32 v47, v9, v51 :: v_dual_fmac_f32 v38, v22, v54
	s_delay_alu instid0(VALU_DEP_4) | instskip(SKIP_1) | instid1(VALU_DEP_4)
	v_fma_f32 v43, v2, v44, -v23
	v_mul_f32_e32 v49, v32, v53
	v_fma_f32 v44, v0, v46, -v24
	v_fma_f32 v8, v3, v48, -v45
	;; [unrolled: 1-line block ×3, first 2 shown]
	v_add_f32_e32 v0, v25, v43
	v_mul_f32_e32 v37, v1, v51
	v_fmac_f32_e32 v41, v11, v48
	s_delay_alu instid0(VALU_DEP_2) | instskip(SKIP_3) | instid1(VALU_DEP_4)
	v_dual_add_f32 v0, v0, v44 :: v_dual_fmac_f32 v37, v9, v50
	v_mul_f32_e32 v51, v22, v55
	v_fma_f32 v9, v20, v52, -v49
	v_add_f32_e32 v20, v8, v10
	v_sub_f32_e32 v22, v41, v37
	s_delay_alu instid0(VALU_DEP_4)
	v_fma_f32 v11, v29, v54, -v51
	v_sub_f32_e32 v29, v40, v38
	v_add_f32_e32 v23, v15, v9
	v_add_f32_e32 v3, v21, v8
	v_fmac_f32_e32 v21, -0.5, v20
	v_dual_add_f32 v1, v43, v44 :: v_dual_add_f32 v24, v9, v11
	v_sub_f32_e32 v2, v42, v39
	s_delay_alu instid0(VALU_DEP_2) | instskip(NEXT) | instid1(VALU_DEP_3)
	v_dual_add_f32 v20, v23, v11 :: v_dual_fmac_f32 v25, -0.5, v1
	v_fmac_f32_e32 v15, -0.5, v24
	v_add_f32_e32 v1, v3, v10
	s_delay_alu instid0(VALU_DEP_3)
	v_fmamk_f32 v3, v2, 0x3f5db3d7, v25
	v_fmac_f32_e32 v25, 0xbf5db3d7, v2
	v_fmamk_f32 v2, v22, 0x3f5db3d7, v21
	v_fmac_f32_e32 v21, 0xbf5db3d7, v22
	;; [unrolled: 2-line block ×3, first 2 shown]
	ds_store_2addr_b32 v36, v0, v3 offset1:9
	ds_store_b32 v36, v25 offset:72
	ds_store_2addr_b32 v35, v1, v2 offset1:9
	ds_store_b32 v35, v21 offset:72
	s_and_saveexec_b32 s1, s0
	s_cbranch_execz .LBB0_33
; %bb.32:
	v_and_b32_e32 v0, 0xffff, v33
	s_delay_alu instid0(VALU_DEP_1) | instskip(NEXT) | instid1(VALU_DEP_1)
	v_lshlrev_b32_e32 v0, 2, v0
	v_add3_u32 v0, 0, v34, v0
	ds_store_2addr_b32 v0, v20, v22 offset1:9
	ds_store_b32 v0, v15 offset:72
.LBB0_33:
	s_wait_alu 0xfffe
	s_or_b32 exec_lo, exec_lo, s1
	v_add_nc_u32_e32 v0, 0xa00, v28
	v_add_nc_u32_e32 v1, 0x1440, v28
	global_wb scope:SCOPE_SE
	s_wait_dscnt 0x0
	s_barrier_signal -1
	s_barrier_wait -1
	global_inv scope:SCOPE_SE
	ds_load_2addr_b32 v[2:3], v0 offset0:8 offset1:251
	ds_load_2addr_b32 v[0:1], v1 offset1:243
	ds_load_b32 v24, v28
	ds_load_b32 v23, v17
	s_and_saveexec_b32 s1, s0
	s_cbranch_execz .LBB0_35
; %bb.34:
	ds_load_b32 v22, v28 offset:4536
	ds_load_b32 v20, v18 offset:1944
	;; [unrolled: 1-line block ×3, first 2 shown]
.LBB0_35:
	s_wait_alu 0xfffe
	s_or_b32 exec_lo, exec_lo, s1
	v_dual_add_f32 v21, v42, v39 :: v_dual_add_f32 v32, v41, v37
	v_add_f32_e32 v25, v31, v42
	v_dual_sub_f32 v29, v43, v44 :: v_dual_sub_f32 v8, v8, v10
	s_delay_alu instid0(VALU_DEP_3)
	v_dual_fmac_f32 v31, -0.5, v21 :: v_dual_add_f32 v10, v19, v40
	v_add_f32_e32 v21, v30, v41
	v_sub_f32_e32 v9, v9, v11
	v_dual_add_f32 v41, v40, v38 :: v_dual_fmac_f32 v30, -0.5, v32
	v_add_f32_e32 v25, v25, v39
	v_fmamk_f32 v39, v29, 0xbf5db3d7, v31
	v_fmac_f32_e32 v31, 0x3f5db3d7, v29
	s_delay_alu instid0(VALU_DEP_4) | instskip(SKIP_2) | instid1(VALU_DEP_3)
	v_fmac_f32_e32 v19, -0.5, v41
	v_fmamk_f32 v29, v8, 0xbf5db3d7, v30
	v_dual_fmac_f32 v30, 0x3f5db3d7, v8 :: v_dual_add_f32 v11, v21, v37
	v_dual_add_f32 v21, v10, v38 :: v_dual_fmamk_f32 v32, v9, 0xbf5db3d7, v19
	v_fmac_f32_e32 v19, 0x3f5db3d7, v9
	global_wb scope:SCOPE_SE
	s_wait_dscnt 0x0
	s_barrier_signal -1
	s_barrier_wait -1
	global_inv scope:SCOPE_SE
	ds_store_2addr_b32 v36, v25, v39 offset1:9
	ds_store_b32 v36, v31 offset:72
	ds_store_2addr_b32 v35, v11, v29 offset1:9
	ds_store_b32 v35, v30 offset:72
	s_and_saveexec_b32 s1, s0
	s_cbranch_execz .LBB0_37
; %bb.36:
	v_and_b32_e32 v8, 0xffff, v33
	s_delay_alu instid0(VALU_DEP_1) | instskip(NEXT) | instid1(VALU_DEP_1)
	v_lshlrev_b32_e32 v8, 2, v8
	v_add3_u32 v8, 0, v34, v8
	ds_store_2addr_b32 v8, v21, v32 offset1:9
	ds_store_b32 v8, v19 offset:72
.LBB0_37:
	s_wait_alu 0xfffe
	s_or_b32 exec_lo, exec_lo, s1
	v_add_nc_u32_e32 v8, 0xa00, v28
	v_add_nc_u32_e32 v9, 0x1440, v28
	global_wb scope:SCOPE_SE
	s_wait_dscnt 0x0
	s_barrier_signal -1
	s_barrier_wait -1
	global_inv scope:SCOPE_SE
	ds_load_2addr_b32 v[10:11], v8 offset0:8 offset1:251
	ds_load_2addr_b32 v[8:9], v9 offset1:243
	ds_load_b32 v29, v28
	ds_load_b32 v25, v17
	s_and_saveexec_b32 s1, s0
	s_cbranch_execz .LBB0_39
; %bb.38:
	ds_load_b32 v32, v28 offset:4536
	ds_load_b32 v21, v18 offset:1944
	;; [unrolled: 1-line block ×3, first 2 shown]
.LBB0_39:
	s_wait_alu 0xfffe
	s_or_b32 exec_lo, exec_lo, s1
	v_mul_u32_u24_e32 v14, 0x2f69, v14
	v_mul_lo_u16 v30, v13, 19
	v_mul_u32_u24_e32 v12, 0x2f69, v12
	s_delay_alu instid0(VALU_DEP_3) | instskip(NEXT) | instid1(VALU_DEP_3)
	v_lshrrev_b32_e32 v14, 16, v14
	v_lshrrev_b16 v30, 9, v30
	s_delay_alu instid0(VALU_DEP_3) | instskip(NEXT) | instid1(VALU_DEP_3)
	v_lshrrev_b32_e32 v12, 16, v12
	v_sub_nc_u16 v31, v27, v14
	s_delay_alu instid0(VALU_DEP_3) | instskip(NEXT) | instid1(VALU_DEP_3)
	v_mul_lo_u16 v33, v30, 27
	v_sub_nc_u16 v34, v16, v12
	v_and_b32_e32 v30, 0xffff, v30
	s_delay_alu instid0(VALU_DEP_4) | instskip(NEXT) | instid1(VALU_DEP_4)
	v_lshrrev_b16 v31, 1, v31
	v_sub_nc_u16 v33, v26, v33
	s_delay_alu instid0(VALU_DEP_4) | instskip(NEXT) | instid1(VALU_DEP_4)
	v_lshrrev_b16 v34, 1, v34
	v_mul_u32_u24_e32 v30, 0x144, v30
	s_delay_alu instid0(VALU_DEP_4) | instskip(NEXT) | instid1(VALU_DEP_4)
	v_add_nc_u16 v14, v31, v14
	v_and_b32_e32 v31, 0xff, v33
	s_delay_alu instid0(VALU_DEP_4) | instskip(NEXT) | instid1(VALU_DEP_3)
	v_add_nc_u16 v12, v34, v12
	v_lshrrev_b16 v14, 4, v14
	s_delay_alu instid0(VALU_DEP_3) | instskip(NEXT) | instid1(VALU_DEP_3)
	v_lshlrev_b32_e32 v33, 4, v31
	v_lshrrev_b16 v12, 4, v12
	s_delay_alu instid0(VALU_DEP_3) | instskip(SKIP_4) | instid1(VALU_DEP_3)
	v_mul_lo_u16 v37, v14, 27
	global_load_b128 v[33:36], v33, s[4:5] offset:192
	v_mul_lo_u16 v38, v12, 27
	v_and_b32_e32 v14, 0xffff, v14
	v_sub_nc_u16 v37, v27, v37
	v_sub_nc_u16 v38, v16, v38
	s_delay_alu instid0(VALU_DEP_3) | instskip(NEXT) | instid1(VALU_DEP_3)
	v_mul_u32_u24_e32 v49, 0x144, v14
	v_and_b32_e32 v37, 0xffff, v37
	s_delay_alu instid0(VALU_DEP_3) | instskip(NEXT) | instid1(VALU_DEP_1)
	v_and_b32_e32 v38, 0xffff, v38
	v_lshlrev_b32_e32 v40, 4, v38
	v_lshlrev_b32_e32 v14, 2, v38
	s_wait_loadcnt_dscnt 0x3
	v_mul_f32_e32 v38, v10, v34
	s_delay_alu instid0(VALU_DEP_1) | instskip(SKIP_1) | instid1(VALU_DEP_1)
	v_fma_f32 v38, v2, v33, -v38
	v_lshlrev_b32_e32 v31, 2, v31
	v_add3_u32 v31, 0, v30, v31
	v_mul_lo_u16 v30, 0x51, v12
	v_dual_mul_f32 v12, v0, v36 :: v_dual_lshlrev_b32 v39, 4, v37
	s_wait_dscnt 0x2
	s_delay_alu instid0(VALU_DEP_1)
	v_fmac_f32_e32 v12, v8, v35
	s_clause 0x1
	global_load_b128 v[41:44], v39, s[4:5] offset:192
	global_load_b128 v[45:48], v40, s[4:5] offset:192
	v_dual_mul_f32 v40, v8, v36 :: v_dual_mul_f32 v39, v2, v34
	global_wb scope:SCOPE_SE
	s_wait_loadcnt_dscnt 0x0
	s_barrier_signal -1
	s_barrier_wait -1
	v_fma_f32 v40, v0, v35, -v40
	v_dual_add_f32 v0, v24, v38 :: v_dual_lshlrev_b32 v37, 2, v37
	global_inv scope:SCOPE_SE
	v_add_f32_e32 v2, v38, v40
	v_dual_mul_f32 v36, v9, v44 :: v_dual_fmac_f32 v39, v10, v33
	v_add3_u32 v33, 0, v49, v37
	v_add_f32_e32 v49, v0, v40
	v_mul_f32_e32 v0, v15, v48
	v_dual_mul_f32 v35, v3, v42 :: v_dual_mul_f32 v34, v1, v44
	v_dual_sub_f32 v10, v39, v12 :: v_dual_mul_f32 v37, v32, v46
	s_delay_alu instid0(VALU_DEP_3)
	v_fmac_f32_e32 v0, v19, v47
	v_mul_f32_e32 v8, v11, v42
	v_mul_f32_e32 v42, v19, v48
	v_fma_f32 v36, v1, v43, -v36
	v_fmac_f32_e32 v35, v11, v41
	v_fma_f32 v1, v22, v45, -v37
	v_fma_f32 v3, v3, v41, -v8
	;; [unrolled: 1-line block ×3, first 2 shown]
	v_fmac_f32_e32 v34, v9, v43
	s_delay_alu instid0(VALU_DEP_3) | instskip(NEXT) | instid1(VALU_DEP_3)
	v_add_f32_e32 v8, v3, v36
	v_dual_fmac_f32 v24, -0.5, v2 :: v_dual_add_f32 v11, v1, v37
	v_add_f32_e32 v15, v23, v3
	s_delay_alu instid0(VALU_DEP_4) | instskip(NEXT) | instid1(VALU_DEP_4)
	v_sub_f32_e32 v19, v35, v34
	v_dual_fmac_f32 v23, -0.5, v8 :: v_dual_mul_f32 v2, v22, v46
	s_delay_alu instid0(VALU_DEP_4) | instskip(SKIP_2) | instid1(VALU_DEP_4)
	v_fmamk_f32 v44, v10, 0x3f5db3d7, v24
	v_fma_f32 v8, -0.5, v11, v20
	v_fmac_f32_e32 v24, 0xbf5db3d7, v10
	v_dual_fmamk_f32 v11, v19, 0x3f5db3d7, v23 :: v_dual_fmac_f32 v2, v32, v45
	v_dual_fmac_f32 v23, 0xbf5db3d7, v19 :: v_dual_add_f32 v10, v15, v36
	ds_store_2addr_b32 v31, v49, v44 offset1:27
	ds_store_b32 v31, v24 offset:216
	ds_store_2addr_b32 v33, v10, v11 offset1:27
	ds_store_b32 v33, v23 offset:216
	v_sub_f32_e32 v9, v2, v0
	s_delay_alu instid0(VALU_DEP_1)
	v_fmamk_f32 v19, v9, 0xbf5db3d7, v8
	s_and_saveexec_b32 s1, s0
	s_cbranch_execz .LBB0_41
; %bb.40:
	v_dual_add_f32 v11, v20, v1 :: v_dual_and_b32 v10, 0xffff, v30
	s_delay_alu instid0(VALU_DEP_1) | instskip(NEXT) | instid1(VALU_DEP_1)
	v_dual_mul_f32 v9, 0x3f5db3d7, v9 :: v_dual_lshlrev_b32 v10, 2, v10
	v_dual_add_f32 v8, v9, v8 :: v_dual_add_f32 v9, v11, v37
	s_delay_alu instid0(VALU_DEP_2)
	v_add3_u32 v10, 0, v14, v10
	ds_store_2addr_b32 v10, v9, v8 offset1:27
	ds_store_b32 v10, v19 offset:216
.LBB0_41:
	s_wait_alu 0xfffe
	s_or_b32 exec_lo, exec_lo, s1
	v_dual_add_f32 v8, v29, v39 :: v_dual_add_f32 v9, v39, v12
	v_sub_f32_e32 v20, v38, v40
	v_add_f32_e32 v38, v35, v34
	v_dual_add_f32 v35, v25, v35 :: v_dual_add_nc_u32 v32, 0xb40, v28
	s_delay_alu instid0(VALU_DEP_4)
	v_add_f32_e32 v39, v8, v12
	v_fmac_f32_e32 v29, -0.5, v9
	global_wb scope:SCOPE_SE
	s_wait_dscnt 0x0
	s_barrier_signal -1
	s_barrier_wait -1
	global_inv scope:SCOPE_SE
	v_dual_fmac_f32 v25, -0.5, v38 :: v_dual_add_nc_u32 v24, 0x12e0, v28
	ds_load_b32 v22, v18 offset:1944
	ds_load_b32 v15, v28 offset:6804
	ds_load_b32 v10, v28
	ds_load_b32 v23, v17
	ds_load_2addr_b32 v[11:12], v32 offset0:9 offset1:252
	ds_load_2addr_b32 v[8:9], v24 offset0:7 offset1:250
	v_dual_add_f32 v40, v2, v0 :: v_dual_fmamk_f32 v41, v20, 0xbf5db3d7, v29
	v_dual_sub_f32 v36, v3, v36 :: v_dual_sub_f32 v1, v1, v37
	v_dual_fmac_f32 v29, 0x3f5db3d7, v20 :: v_dual_add_f32 v34, v35, v34
	s_delay_alu instid0(VALU_DEP_3) | instskip(NEXT) | instid1(VALU_DEP_3)
	v_fma_f32 v3, -0.5, v40, v21
	v_fmamk_f32 v35, v36, 0xbf5db3d7, v25
	v_fmac_f32_e32 v25, 0x3f5db3d7, v36
	global_wb scope:SCOPE_SE
	s_wait_dscnt 0x0
	s_barrier_signal -1
	v_fmamk_f32 v20, v1, 0x3f5db3d7, v3
	s_barrier_wait -1
	global_inv scope:SCOPE_SE
	ds_store_2addr_b32 v31, v39, v41 offset1:27
	ds_store_b32 v31, v29 offset:216
	ds_store_2addr_b32 v33, v34, v35 offset1:27
	ds_store_b32 v33, v25 offset:216
	s_and_saveexec_b32 s1, s0
	s_cbranch_execz .LBB0_43
; %bb.42:
	v_dual_add_f32 v2, v21, v2 :: v_dual_mul_f32 v1, 0x3f5db3d7, v1
	s_delay_alu instid0(VALU_DEP_1) | instskip(NEXT) | instid1(VALU_DEP_2)
	v_dual_add_f32 v0, v2, v0 :: v_dual_and_b32 v25, 0xffff, v30
	v_sub_f32_e32 v1, v3, v1
	s_delay_alu instid0(VALU_DEP_2) | instskip(NEXT) | instid1(VALU_DEP_1)
	v_lshlrev_b32_e32 v21, 2, v25
	v_add3_u32 v2, 0, v14, v21
	ds_store_2addr_b32 v2, v0, v1 offset1:27
	ds_store_b32 v2, v20 offset:216
.LBB0_43:
	s_wait_alu 0xfffe
	s_or_b32 exec_lo, exec_lo, s1
	v_mul_lo_u16 v0, 0xcb, v13
	global_wb scope:SCOPE_SE
	s_wait_dscnt 0x0
	s_barrier_signal -1
	s_barrier_wait -1
	global_inv scope:SCOPE_SE
	v_lshrrev_b16 v21, 14, v0
	s_delay_alu instid0(VALU_DEP_1) | instskip(NEXT) | instid1(VALU_DEP_1)
	v_mul_lo_u16 v0, 0x51, v21
	v_sub_nc_u16 v0, v26, v0
	s_delay_alu instid0(VALU_DEP_1) | instskip(NEXT) | instid1(VALU_DEP_1)
	v_and_b32_e32 v25, 0xff, v0
	v_mul_u32_u24_e32 v0, 7, v25
	s_delay_alu instid0(VALU_DEP_1)
	v_lshlrev_b32_e32 v13, 3, v0
	s_clause 0x3
	global_load_b128 v[33:36], v13, s[4:5] offset:624
	global_load_b128 v[0:3], v13, s[4:5] offset:640
	;; [unrolled: 1-line block ×3, first 2 shown]
	global_load_b64 v[41:42], v13, s[4:5] offset:672
	ds_load_b32 v45, v17
	ds_load_b32 v46, v18 offset:1944
	ds_load_2addr_b32 v[13:14], v32 offset0:9 offset1:252
	ds_load_2addr_b32 v[43:44], v24 offset0:7 offset1:250
	ds_load_b32 v24, v28 offset:6804
	v_and_b32_e32 v21, 0xffff, v21
	v_lshlrev_b32_e32 v30, 2, v25
	v_add_nc_u32_e32 v25, 0xa00, v28
	v_add_nc_u32_e32 v29, 0x1440, v28
	ds_load_b32 v31, v28
	global_wb scope:SCOPE_SE
	s_wait_loadcnt_dscnt 0x0
	s_barrier_signal -1
	s_barrier_wait -1
	global_inv scope:SCOPE_SE
	v_mul_f32_e32 v32, v22, v36
	v_mul_u32_u24_e32 v21, 0xa20, v21
	v_dual_mul_f32 v47, v46, v36 :: v_dual_mul_f32 v36, v13, v1
	v_dual_mul_f32 v1, v11, v1 :: v_dual_mul_f32 v50, v44, v40
	s_delay_alu instid0(VALU_DEP_3)
	v_add3_u32 v30, 0, v21, v30
	v_mul_f32_e32 v21, v45, v34
	v_mul_f32_e32 v34, v23, v34
	v_dual_mul_f32 v48, v14, v3 :: v_dual_mul_f32 v51, v24, v42
	v_dual_mul_f32 v49, v43, v38 :: v_dual_mul_f32 v40, v9, v40
	v_mul_f32_e32 v38, v8, v38
	v_mul_f32_e32 v42, v15, v42
	v_fma_f32 v21, v23, v33, -v21
	v_fmac_f32_e32 v34, v45, v33
	v_fma_f32 v23, v22, v35, -v47
	v_dual_fmac_f32 v32, v46, v35 :: v_dual_fmac_f32 v1, v13, v0
	v_fma_f32 v11, v11, v0, -v36
	v_fma_f32 v0, v12, v2, -v48
	;; [unrolled: 1-line block ×5, first 2 shown]
	v_fmac_f32_e32 v40, v44, v39
	v_fmac_f32_e32 v38, v43, v37
	s_delay_alu instid0(VALU_DEP_4) | instskip(NEXT) | instid1(VALU_DEP_3)
	v_dual_sub_f32 v0, v10, v0 :: v_dual_sub_f32 v13, v11, v13
	v_dual_sub_f32 v22, v23, v9 :: v_dual_sub_f32 v33, v32, v40
	s_delay_alu instid0(VALU_DEP_3) | instskip(NEXT) | instid1(VALU_DEP_3)
	v_sub_f32_e32 v9, v34, v38
	v_fma_f32 v10, v10, 2.0, -v0
	s_delay_alu instid0(VALU_DEP_4)
	v_fma_f32 v11, v11, 2.0, -v13
	v_sub_f32_e32 v8, v21, v8
	v_fma_f32 v23, v23, 2.0, -v22
	v_fmac_f32_e32 v42, v24, v41
	v_add_f32_e32 v39, v9, v13
	v_dual_sub_f32 v36, v0, v33 :: v_dual_add_nc_u32 v13, 0x400, v30
	v_fma_f32 v24, v21, 2.0, -v8
	v_sub_f32_e32 v23, v10, v23
	v_sub_f32_e32 v15, v1, v42
	v_fma_f32 v41, v9, 2.0, -v39
	v_fma_f32 v38, v0, 2.0, -v36
	;; [unrolled: 1-line block ×3, first 2 shown]
	s_delay_alu instid0(VALU_DEP_4) | instskip(SKIP_3) | instid1(VALU_DEP_3)
	v_fma_f32 v21, v1, 2.0, -v15
	v_sub_f32_e32 v1, v24, v11
	v_sub_f32_e32 v37, v8, v15
	v_add_nc_u32_e32 v15, 0x600, v30
	v_fma_f32 v9, v24, 2.0, -v1
	s_delay_alu instid0(VALU_DEP_3) | instskip(SKIP_1) | instid1(VALU_DEP_2)
	v_fma_f32 v40, v8, 2.0, -v37
	v_fma_f32 v8, v10, 2.0, -v23
	v_dual_sub_f32 v35, v34, v21 :: v_dual_fmamk_f32 v10, v40, 0xbf3504f3, v38
	s_delay_alu instid0(VALU_DEP_1) | instskip(NEXT) | instid1(VALU_DEP_2)
	v_dual_sub_f32 v9, v8, v9 :: v_dual_sub_f32 v0, v23, v35
	v_fmac_f32_e32 v10, 0xbf3504f3, v41
	v_fmamk_f32 v21, v37, 0x3f3504f3, v36
	s_delay_alu instid0(VALU_DEP_3) | instskip(NEXT) | instid1(VALU_DEP_4)
	v_fma_f32 v11, v23, 2.0, -v0
	v_fma_f32 v8, v8, 2.0, -v9
	v_mul_f32_e32 v37, 0x3f3504f3, v37
	v_fma_f32 v24, v38, 2.0, -v10
	v_fmac_f32_e32 v21, 0xbf3504f3, v39
	v_dual_mul_f32 v38, 0x3f3504f3, v41 :: v_dual_mul_f32 v39, 0x3f3504f3, v39
	s_delay_alu instid0(VALU_DEP_2)
	v_fma_f32 v23, v36, 2.0, -v21
	ds_store_2addr_b32 v15, v0, v21 offset0:102 offset1:183
	ds_store_2addr_b32 v30, v11, v23 offset0:162 offset1:243
	ds_store_2addr_b32 v13, v9, v10 offset0:68 offset1:149
	ds_store_2addr_b32 v30, v8, v24 offset1:81
	global_wb scope:SCOPE_SE
	s_wait_dscnt 0x0
	s_barrier_signal -1
	s_barrier_wait -1
	global_inv scope:SCOPE_SE
	ds_load_2addr_b32 v[8:9], v25 offset0:8 offset1:251
	ds_load_2addr_b32 v[10:11], v29 offset1:243
	ds_load_b32 v23, v28
	ds_load_b32 v24, v17
	v_mul_f32_e32 v36, 0x3f3504f3, v40
	s_and_saveexec_b32 s1, s0
	s_cbranch_execz .LBB0_45
; %bb.44:
	ds_load_b32 v21, v28 offset:4536
	ds_load_b32 v0, v18 offset:1944
	;; [unrolled: 1-line block ×3, first 2 shown]
.LBB0_45:
	s_wait_alu 0xfffe
	s_or_b32 exec_lo, exec_lo, s1
	v_mul_f32_e32 v3, v12, v3
	global_wb scope:SCOPE_SE
	s_wait_dscnt 0x0
	s_barrier_signal -1
	s_barrier_wait -1
	global_inv scope:SCOPE_SE
	v_fmac_f32_e32 v3, v14, v2
	s_delay_alu instid0(VALU_DEP_1) | instskip(SKIP_1) | instid1(VALU_DEP_2)
	v_sub_f32_e32 v2, v31, v3
	v_fma_f32 v3, v32, 2.0, -v33
	v_add_f32_e32 v14, v2, v22
	v_fma_f32 v12, v31, 2.0, -v2
	v_fma_f32 v31, v34, 2.0, -v35
	s_delay_alu instid0(VALU_DEP_3) | instskip(NEXT) | instid1(VALU_DEP_1)
	v_fma_f32 v2, v2, 2.0, -v14
	v_dual_sub_f32 v3, v12, v3 :: v_dual_sub_f32 v32, v2, v38
	s_delay_alu instid0(VALU_DEP_1) | instskip(SKIP_1) | instid1(VALU_DEP_3)
	v_dual_add_f32 v22, v14, v39 :: v_dual_add_f32 v1, v3, v1
	v_fma_f32 v12, v12, 2.0, -v3
	v_add_f32_e32 v32, v36, v32
	s_delay_alu instid0(VALU_DEP_3) | instskip(NEXT) | instid1(VALU_DEP_4)
	v_add_f32_e32 v22, v37, v22
	v_fma_f32 v3, v3, 2.0, -v1
	s_delay_alu instid0(VALU_DEP_4) | instskip(NEXT) | instid1(VALU_DEP_4)
	v_sub_f32_e32 v31, v12, v31
	v_fma_f32 v2, v2, 2.0, -v32
	s_delay_alu instid0(VALU_DEP_4) | instskip(NEXT) | instid1(VALU_DEP_3)
	v_fma_f32 v14, v14, 2.0, -v22
	v_fma_f32 v12, v12, 2.0, -v31
	ds_store_2addr_b32 v15, v1, v22 offset0:102 offset1:183
	ds_store_2addr_b32 v30, v3, v14 offset0:162 offset1:243
	;; [unrolled: 1-line block ×3, first 2 shown]
	ds_store_2addr_b32 v30, v12, v2 offset1:81
	global_wb scope:SCOPE_SE
	s_wait_dscnt 0x0
	s_barrier_signal -1
	s_barrier_wait -1
	global_inv scope:SCOPE_SE
	ds_load_2addr_b32 v[12:13], v25 offset0:8 offset1:251
	ds_load_2addr_b32 v[14:15], v29 offset1:243
	ds_load_b32 v25, v28
	ds_load_b32 v17, v17
	s_and_saveexec_b32 s1, s0
	s_cbranch_execz .LBB0_47
; %bb.46:
	ds_load_b32 v22, v28 offset:4536
	ds_load_b32 v1, v18 offset:1944
	;; [unrolled: 1-line block ×3, first 2 shown]
.LBB0_47:
	s_wait_alu 0xfffe
	s_or_b32 exec_lo, exec_lo, s1
	s_and_saveexec_b32 s1, vcc_lo
	s_cbranch_execz .LBB0_50
; %bb.48:
	v_dual_mov_b32 v3, 0 :: v_dual_lshlrev_b32 v2, 1, v27
	v_mul_hi_u32 v18, 0xca4587e7, v26
	v_add_nc_u32_e32 v37, 0xf3, v26
	v_mul_lo_u32 v7, s2, v7
	v_mad_co_u64_u32 v[35:36], null, s2, v6, 0
	v_lshlrev_b64_e32 v[27:28], 3, v[2:3]
	v_lshlrev_b32_e32 v2, 1, v26
	v_mul_hi_u32 v38, 0xca4587e7, v37
	v_lshrrev_b32_e32 v18, 9, v18
	v_lshlrev_b64_e32 v[4:5], 3, v[4:5]
	s_delay_alu instid0(VALU_DEP_4) | instskip(SKIP_4) | instid1(VALU_DEP_4)
	v_lshlrev_b64_e32 v[31:32], 3, v[2:3]
	v_add_co_u32 v27, vcc_lo, s4, v27
	s_wait_alu 0xfffd
	v_add_co_ci_u32_e32 v28, vcc_lo, s5, v28, vcc_lo
	v_mul_lo_u32 v2, s3, v6
	v_add_co_u32 v31, vcc_lo, s4, v31
	global_load_b128 v[27:30], v[27:28], off offset:5160
	s_wait_alu 0xfffd
	v_add_co_ci_u32_e32 v32, vcc_lo, s5, v32, vcc_lo
	v_add3_u32 v36, v36, v7, v2
	global_load_b128 v[31:34], v[31:32], off offset:5160
	v_mul_u32_u24_e32 v2, 0x288, v18
	v_lshrrev_b32_e32 v7, 9, v38
	v_lshlrev_b64_e32 v[35:36], 3, v[35:36]
	s_delay_alu instid0(VALU_DEP_3) | instskip(NEXT) | instid1(VALU_DEP_3)
	v_sub_nc_u32_e32 v18, v26, v2
	v_mul_u32_u24_e32 v2, 0x288, v7
	s_delay_alu instid0(VALU_DEP_3) | instskip(SKIP_1) | instid1(VALU_DEP_4)
	v_add_co_u32 v38, s1, s10, v35
	s_wait_alu 0xf1fe
	v_add_co_ci_u32_e64 v39, s1, s11, v36, s1
	v_mad_co_u64_u32 v[35:36], null, s16, v18, 0
	v_add_nc_u32_e32 v48, 0x288, v18
	v_sub_nc_u32_e32 v2, v37, v2
	v_add_co_u32 v4, s1, v38, v4
	v_add_nc_u32_e32 v50, 0x510, v18
	s_delay_alu instid0(VALU_DEP_4) | instskip(NEXT) | instid1(VALU_DEP_4)
	v_mad_co_u64_u32 v[37:38], null, s16, v48, 0
	v_mad_u32_u24 v51, 0x798, v7, v2
	v_mov_b32_e32 v2, v36
	s_wait_alu 0xf1ff
	v_add_co_ci_u32_e64 v5, s1, v39, v5, s1
	v_mad_co_u64_u32 v[39:40], null, s16, v50, 0
	v_mad_co_u64_u32 v[41:42], null, s16, v51, 0
	v_add_nc_u32_e32 v52, 0x288, v51
	v_add_nc_u32_e32 v53, 0x510, v51
	v_mad_co_u64_u32 v[43:44], null, s17, v18, v[2:3]
	v_mov_b32_e32 v2, v38
	s_delay_alu instid0(VALU_DEP_4) | instskip(SKIP_2) | instid1(VALU_DEP_4)
	v_mad_co_u64_u32 v[44:45], null, s16, v52, 0
	v_mov_b32_e32 v7, v40
	v_mad_co_u64_u32 v[46:47], null, s16, v53, 0
	v_mad_co_u64_u32 v[48:49], null, s17, v48, v[2:3]
	v_mov_b32_e32 v2, v42
	v_mov_b32_e32 v36, v43
	v_mad_co_u64_u32 v[49:50], null, s17, v50, v[7:8]
	v_dual_mov_b32 v7, v47 :: v_dual_add_nc_u32 v6, 0x1e6, v26
	s_delay_alu instid0(VALU_DEP_4) | instskip(SKIP_2) | instid1(VALU_DEP_4)
	v_mad_co_u64_u32 v[42:43], null, s17, v51, v[2:3]
	v_mov_b32_e32 v2, v45
	v_mov_b32_e32 v38, v48
	v_cmp_gt_u32_e32 vcc_lo, 0x288, v6
	s_delay_alu instid0(VALU_DEP_3) | instskip(SKIP_1) | instid1(VALU_DEP_2)
	v_mad_co_u64_u32 v[47:48], null, s17, v52, v[2:3]
	v_lshlrev_b64_e32 v[41:42], 3, v[41:42]
	v_mov_b32_e32 v45, v47
	s_delay_alu instid0(VALU_DEP_1)
	v_lshlrev_b64_e32 v[43:44], 3, v[44:45]
	s_wait_loadcnt 0x1
	v_mul_f32_e32 v18, v9, v28
	s_wait_dscnt 0x3
	v_mul_f32_e32 v2, v13, v28
	s_wait_loadcnt 0x0
	s_delay_alu instid0(VALU_DEP_2) | instskip(NEXT) | instid1(VALU_DEP_1)
	v_dual_fmac_f32 v18, v13, v27 :: v_dual_mul_f32 v13, v8, v32
	v_fmac_f32_e32 v13, v12, v31
	s_delay_alu instid0(VALU_DEP_3) | instskip(SKIP_4) | instid1(VALU_DEP_1)
	v_fma_f32 v2, v9, v27, -v2
	v_mov_b32_e32 v40, v49
	v_mad_co_u64_u32 v[48:49], null, s17, v53, v[7:8]
	s_wait_dscnt 0x2
	v_mul_f32_e32 v7, v15, v30
	v_fma_f32 v9, v11, v29, -v7
	s_delay_alu instid0(VALU_DEP_3) | instskip(SKIP_2) | instid1(VALU_DEP_4)
	v_dual_mov_b32 v47, v48 :: v_dual_mul_f32 v28, v11, v30
	v_mul_f32_e32 v11, v14, v34
	v_mul_f32_e32 v7, v12, v32
	v_sub_f32_e32 v27, v2, v9
	s_delay_alu instid0(VALU_DEP_4)
	v_lshlrev_b64_e32 v[45:46], 3, v[46:47]
	v_lshlrev_b64_e32 v[35:36], 3, v[35:36]
	v_fma_f32 v47, v10, v33, -v11
	v_add_f32_e32 v30, v2, v9
	v_add_f32_e32 v2, v24, v2
	v_lshlrev_b64_e32 v[39:40], 3, v[39:40]
	v_add_co_u32 v35, s1, v4, v35
	s_delay_alu instid0(VALU_DEP_3)
	v_add_f32_e32 v9, v2, v9
	v_dual_fmac_f32 v28, v15, v29 :: v_dual_mul_f32 v15, v10, v34
	v_fma_f32 v34, v8, v31, -v7
	v_lshlrev_b64_e32 v[37:38], 3, v[37:38]
	s_wait_alu 0xf1ff
	v_add_co_ci_u32_e64 v36, s1, v5, v36, s1
	v_fmac_f32_e32 v15, v14, v33
	s_delay_alu instid0(VALU_DEP_3) | instskip(NEXT) | instid1(VALU_DEP_2)
	v_add_co_u32 v37, s1, v4, v37
	v_add_f32_e32 v11, v13, v15
	v_add_f32_e32 v29, v18, v28
	v_sub_f32_e32 v32, v18, v28
	s_wait_dscnt 0x0
	v_add_f32_e32 v18, v17, v18
	s_wait_alu 0xf1ff
	v_add_co_ci_u32_e64 v38, s1, v5, v38, s1
	v_fma_f32 v8, -0.5, v29, v17
	v_add_f32_e32 v17, v23, v34
	v_add_co_u32 v39, s1, v4, v39
	v_fma_f32 v12, -0.5, v11, v25
	s_wait_alu 0xf1ff
	v_add_co_ci_u32_e64 v40, s1, v5, v40, s1
	v_add_f32_e32 v17, v17, v47
	v_fma_f32 v7, -0.5, v30, v24
	v_add_f32_e32 v14, v34, v47
	v_sub_f32_e32 v2, v34, v47
	v_add_co_u32 v41, s1, v4, v41
	s_wait_alu 0xf1ff
	v_add_co_ci_u32_e64 v42, s1, v5, v42, s1
	v_fma_f32 v11, -0.5, v14, v23
	v_add_f32_e32 v10, v18, v28
	v_sub_f32_e32 v28, v13, v15
	v_add_f32_e32 v13, v25, v13
	v_add_co_u32 v43, s1, v4, v43
	s_wait_alu 0xf1ff
	v_add_co_ci_u32_e64 v44, s1, v5, v44, s1
	s_delay_alu instid0(VALU_DEP_3)
	v_dual_fmamk_f32 v23, v28, 0xbf5db3d7, v11 :: v_dual_add_f32 v18, v13, v15
	v_fmac_f32_e32 v11, 0x3f5db3d7, v28
	v_fmamk_f32 v13, v32, 0xbf5db3d7, v7
	v_fmamk_f32 v24, v2, 0x3f5db3d7, v12
	v_fmac_f32_e32 v12, 0xbf5db3d7, v2
	v_add_co_u32 v45, s1, v4, v45
	v_fmamk_f32 v14, v27, 0x3f5db3d7, v8
	v_fmac_f32_e32 v8, 0xbf5db3d7, v27
	v_fmac_f32_e32 v7, 0x3f5db3d7, v32
	s_wait_alu 0xf1ff
	v_add_co_ci_u32_e64 v46, s1, v5, v46, s1
	s_clause 0x5
	global_store_b64 v[35:36], v[17:18], off
	global_store_b64 v[37:38], v[11:12], off
	;; [unrolled: 1-line block ×6, first 2 shown]
	s_and_b32 exec_lo, exec_lo, vcc_lo
	s_cbranch_execz .LBB0_50
; %bb.49:
	v_add_nc_u32_e32 v2, 0xffffff5e, v26
	v_add_nc_u32_e32 v17, 0x46e, v26
	s_delay_alu instid0(VALU_DEP_2) | instskip(NEXT) | instid1(VALU_DEP_2)
	v_cndmask_b32_e64 v2, v2, v16, s0
	v_mad_co_u64_u32 v[11:12], null, s16, v17, 0
	s_delay_alu instid0(VALU_DEP_2) | instskip(NEXT) | instid1(VALU_DEP_1)
	v_lshlrev_b32_e32 v2, 1, v2
	v_lshlrev_b64_e32 v[2:3], 3, v[2:3]
	s_delay_alu instid0(VALU_DEP_1) | instskip(SKIP_1) | instid1(VALU_DEP_2)
	v_add_co_u32 v2, vcc_lo, s4, v2
	s_wait_alu 0xfffd
	v_add_co_ci_u32_e32 v3, vcc_lo, s5, v3, vcc_lo
	global_load_b128 v[7:10], v[2:3], off offset:5160
	v_mad_co_u64_u32 v[2:3], null, s16, v6, 0
	s_delay_alu instid0(VALU_DEP_1) | instskip(NEXT) | instid1(VALU_DEP_1)
	v_mad_co_u64_u32 v[15:16], null, s17, v6, v[3:4]
	v_mov_b32_e32 v3, v15
	s_delay_alu instid0(VALU_DEP_1) | instskip(NEXT) | instid1(VALU_DEP_1)
	v_lshlrev_b64_e32 v[2:3], 3, v[2:3]
	v_add_co_u32 v2, vcc_lo, v4, v2
	s_wait_alu 0xfffd
	s_delay_alu instid0(VALU_DEP_2) | instskip(SKIP_3) | instid1(VALU_DEP_1)
	v_add_co_ci_u32_e32 v3, vcc_lo, v5, v3, vcc_lo
	s_wait_loadcnt 0x0
	v_mul_f32_e32 v6, v22, v8
	v_mul_f32_e32 v8, v21, v8
	v_fmac_f32_e32 v8, v22, v7
	v_add_nc_u32_e32 v18, 0x6f6, v26
	s_delay_alu instid0(VALU_DEP_1) | instskip(NEXT) | instid1(VALU_DEP_1)
	v_mad_co_u64_u32 v[13:14], null, s16, v18, 0
	v_mad_co_u64_u32 v[16:17], null, s17, v17, v[12:13]
	s_delay_alu instid0(VALU_DEP_2) | instskip(SKIP_1) | instid1(VALU_DEP_3)
	v_mad_co_u64_u32 v[17:18], null, s17, v18, v[14:15]
	v_mul_f32_e32 v15, v20, v10
	v_mov_b32_e32 v12, v16
	v_mul_f32_e32 v16, v19, v10
	s_delay_alu instid0(VALU_DEP_4) | instskip(NEXT) | instid1(VALU_DEP_3)
	v_mov_b32_e32 v14, v17
	v_lshlrev_b64_e32 v[11:12], 3, v[11:12]
	s_delay_alu instid0(VALU_DEP_3) | instskip(NEXT) | instid1(VALU_DEP_3)
	v_fmac_f32_e32 v16, v20, v9
	v_lshlrev_b64_e32 v[13:14], 3, v[13:14]
	s_delay_alu instid0(VALU_DEP_3) | instskip(SKIP_1) | instid1(VALU_DEP_4)
	v_add_co_u32 v10, vcc_lo, v4, v11
	s_wait_alu 0xfffd
	v_add_co_ci_u32_e32 v11, vcc_lo, v5, v12, vcc_lo
	s_delay_alu instid0(VALU_DEP_3) | instskip(SKIP_4) | instid1(VALU_DEP_3)
	v_add_co_u32 v4, vcc_lo, v4, v13
	v_add_f32_e32 v13, v8, v16
	s_wait_alu 0xfffd
	v_add_co_ci_u32_e32 v5, vcc_lo, v5, v14, vcc_lo
	v_sub_f32_e32 v14, v8, v16
	v_dual_add_f32 v8, v1, v8 :: v_dual_fmac_f32 v1, -0.5, v13
	v_fma_f32 v6, v21, v7, -v6
	v_fma_f32 v7, v19, v9, -v15
	s_delay_alu instid0(VALU_DEP_1) | instskip(SKIP_1) | instid1(VALU_DEP_2)
	v_dual_add_f32 v12, v0, v6 :: v_dual_add_f32 v9, v6, v7
	v_sub_f32_e32 v15, v6, v7
	v_add_f32_e32 v6, v12, v7
	s_delay_alu instid0(VALU_DEP_3) | instskip(NEXT) | instid1(VALU_DEP_3)
	v_dual_fmac_f32 v0, -0.5, v9 :: v_dual_add_f32 v7, v8, v16
	v_fmamk_f32 v9, v15, 0xbf5db3d7, v1
	s_delay_alu instid0(VALU_DEP_2)
	v_dual_fmac_f32 v1, 0x3f5db3d7, v15 :: v_dual_fmamk_f32 v8, v14, 0x3f5db3d7, v0
	v_fmac_f32_e32 v0, 0xbf5db3d7, v14
	s_clause 0x2
	global_store_b64 v[2:3], v[6:7], off
	global_store_b64 v[10:11], v[8:9], off
	;; [unrolled: 1-line block ×3, first 2 shown]
.LBB0_50:
	s_nop 0
	s_sendmsg sendmsg(MSG_DEALLOC_VGPRS)
	s_endpgm
	.section	.rodata,"a",@progbits
	.p2align	6, 0x0
	.amdhsa_kernel fft_rtc_fwd_len1944_factors_3_3_3_3_8_3_wgs_243_tpt_243_halfLds_sp_op_CI_CI_sbrr_dirReg
		.amdhsa_group_segment_fixed_size 0
		.amdhsa_private_segment_fixed_size 0
		.amdhsa_kernarg_size 104
		.amdhsa_user_sgpr_count 2
		.amdhsa_user_sgpr_dispatch_ptr 0
		.amdhsa_user_sgpr_queue_ptr 0
		.amdhsa_user_sgpr_kernarg_segment_ptr 1
		.amdhsa_user_sgpr_dispatch_id 0
		.amdhsa_user_sgpr_private_segment_size 0
		.amdhsa_wavefront_size32 1
		.amdhsa_uses_dynamic_stack 0
		.amdhsa_enable_private_segment 0
		.amdhsa_system_sgpr_workgroup_id_x 1
		.amdhsa_system_sgpr_workgroup_id_y 0
		.amdhsa_system_sgpr_workgroup_id_z 0
		.amdhsa_system_sgpr_workgroup_info 0
		.amdhsa_system_vgpr_workitem_id 0
		.amdhsa_next_free_vgpr 56
		.amdhsa_next_free_sgpr 43
		.amdhsa_reserve_vcc 1
		.amdhsa_float_round_mode_32 0
		.amdhsa_float_round_mode_16_64 0
		.amdhsa_float_denorm_mode_32 3
		.amdhsa_float_denorm_mode_16_64 3
		.amdhsa_fp16_overflow 0
		.amdhsa_workgroup_processor_mode 1
		.amdhsa_memory_ordered 1
		.amdhsa_forward_progress 0
		.amdhsa_round_robin_scheduling 0
		.amdhsa_exception_fp_ieee_invalid_op 0
		.amdhsa_exception_fp_denorm_src 0
		.amdhsa_exception_fp_ieee_div_zero 0
		.amdhsa_exception_fp_ieee_overflow 0
		.amdhsa_exception_fp_ieee_underflow 0
		.amdhsa_exception_fp_ieee_inexact 0
		.amdhsa_exception_int_div_zero 0
	.end_amdhsa_kernel
	.text
.Lfunc_end0:
	.size	fft_rtc_fwd_len1944_factors_3_3_3_3_8_3_wgs_243_tpt_243_halfLds_sp_op_CI_CI_sbrr_dirReg, .Lfunc_end0-fft_rtc_fwd_len1944_factors_3_3_3_3_8_3_wgs_243_tpt_243_halfLds_sp_op_CI_CI_sbrr_dirReg
                                        ; -- End function
	.section	.AMDGPU.csdata,"",@progbits
; Kernel info:
; codeLenInByte = 8844
; NumSgprs: 45
; NumVgprs: 56
; ScratchSize: 0
; MemoryBound: 0
; FloatMode: 240
; IeeeMode: 1
; LDSByteSize: 0 bytes/workgroup (compile time only)
; SGPRBlocks: 5
; VGPRBlocks: 6
; NumSGPRsForWavesPerEU: 45
; NumVGPRsForWavesPerEU: 56
; Occupancy: 16
; WaveLimiterHint : 1
; COMPUTE_PGM_RSRC2:SCRATCH_EN: 0
; COMPUTE_PGM_RSRC2:USER_SGPR: 2
; COMPUTE_PGM_RSRC2:TRAP_HANDLER: 0
; COMPUTE_PGM_RSRC2:TGID_X_EN: 1
; COMPUTE_PGM_RSRC2:TGID_Y_EN: 0
; COMPUTE_PGM_RSRC2:TGID_Z_EN: 0
; COMPUTE_PGM_RSRC2:TIDIG_COMP_CNT: 0
	.text
	.p2alignl 7, 3214868480
	.fill 96, 4, 3214868480
	.type	__hip_cuid_a6b8788fed115f86,@object ; @__hip_cuid_a6b8788fed115f86
	.section	.bss,"aw",@nobits
	.globl	__hip_cuid_a6b8788fed115f86
__hip_cuid_a6b8788fed115f86:
	.byte	0                               ; 0x0
	.size	__hip_cuid_a6b8788fed115f86, 1

	.ident	"AMD clang version 19.0.0git (https://github.com/RadeonOpenCompute/llvm-project roc-6.4.0 25133 c7fe45cf4b819c5991fe208aaa96edf142730f1d)"
	.section	".note.GNU-stack","",@progbits
	.addrsig
	.addrsig_sym __hip_cuid_a6b8788fed115f86
	.amdgpu_metadata
---
amdhsa.kernels:
  - .args:
      - .actual_access:  read_only
        .address_space:  global
        .offset:         0
        .size:           8
        .value_kind:     global_buffer
      - .offset:         8
        .size:           8
        .value_kind:     by_value
      - .actual_access:  read_only
        .address_space:  global
        .offset:         16
        .size:           8
        .value_kind:     global_buffer
      - .actual_access:  read_only
        .address_space:  global
        .offset:         24
        .size:           8
        .value_kind:     global_buffer
      - .actual_access:  read_only
        .address_space:  global
        .offset:         32
        .size:           8
        .value_kind:     global_buffer
      - .offset:         40
        .size:           8
        .value_kind:     by_value
      - .actual_access:  read_only
        .address_space:  global
        .offset:         48
        .size:           8
        .value_kind:     global_buffer
      - .actual_access:  read_only
        .address_space:  global
        .offset:         56
        .size:           8
        .value_kind:     global_buffer
      - .offset:         64
        .size:           4
        .value_kind:     by_value
      - .actual_access:  read_only
        .address_space:  global
        .offset:         72
        .size:           8
        .value_kind:     global_buffer
      - .actual_access:  read_only
        .address_space:  global
        .offset:         80
        .size:           8
        .value_kind:     global_buffer
      - .actual_access:  read_only
        .address_space:  global
        .offset:         88
        .size:           8
        .value_kind:     global_buffer
      - .actual_access:  write_only
        .address_space:  global
        .offset:         96
        .size:           8
        .value_kind:     global_buffer
    .group_segment_fixed_size: 0
    .kernarg_segment_align: 8
    .kernarg_segment_size: 104
    .language:       OpenCL C
    .language_version:
      - 2
      - 0
    .max_flat_workgroup_size: 243
    .name:           fft_rtc_fwd_len1944_factors_3_3_3_3_8_3_wgs_243_tpt_243_halfLds_sp_op_CI_CI_sbrr_dirReg
    .private_segment_fixed_size: 0
    .sgpr_count:     45
    .sgpr_spill_count: 0
    .symbol:         fft_rtc_fwd_len1944_factors_3_3_3_3_8_3_wgs_243_tpt_243_halfLds_sp_op_CI_CI_sbrr_dirReg.kd
    .uniform_work_group_size: 1
    .uses_dynamic_stack: false
    .vgpr_count:     56
    .vgpr_spill_count: 0
    .wavefront_size: 32
    .workgroup_processor_mode: 1
amdhsa.target:   amdgcn-amd-amdhsa--gfx1201
amdhsa.version:
  - 1
  - 2
...

	.end_amdgpu_metadata
